;; amdgpu-corpus repo=zjin-lcf/HeCBench kind=compiled arch=gfx906 opt=O3
	.amdgcn_target "amdgcn-amd-amdhsa--gfx906"
	.amdhsa_code_object_version 6
	.text
	.protected	_Z13chemv_kernel0P12ComplexFloatS0_S0_ffff ; -- Begin function _Z13chemv_kernel0P12ComplexFloatS0_S0_ffff
	.globl	_Z13chemv_kernel0P12ComplexFloatS0_S0_ffff
	.p2align	8
	.type	_Z13chemv_kernel0P12ComplexFloatS0_S0_ffff,@function
_Z13chemv_kernel0P12ComplexFloatS0_S0_ffff: ; @_Z13chemv_kernel0P12ComplexFloatS0_S0_ffff
; %bb.0:
	s_cmp_lt_i32 s6, 0
	s_mov_b32 s16, 0
	s_cbranch_scc1 .LBB0_8
; %bb.1:
	s_load_dwordx4 s[8:11], s[4:5], 0x0
	s_load_dwordx2 s[0:1], s[4:5], 0x10
	s_load_dwordx4 s[12:15], s[4:5], 0x18
	s_lshl_b32 s2, s6, 5
	v_add_u32_e32 v1, s2, v0
	v_mov_b32_e32 v2, 0
	v_lshlrev_b64 v[7:8], 3, v[1:2]
	s_waitcnt lgkmcnt(0)
	v_mov_b32_e32 v4, s1
	v_add_co_u32_e64 v3, s[0:1], s0, v7
	v_addc_co_u32_e64 v4, s[0:1], v4, v8, s[0:1]
	s_mul_i32 s0, s6, 0x2e60
	s_movk_i32 s1, 0x173
	v_mov_b32_e32 v5, s0
	v_mad_u32_u24 v5, v0, s1, v5
	v_mov_b32_e32 v6, v2
	v_lshlrev_b64 v[5:6], 3, v[5:6]
	s_or_b32 s3, s2, 30
	v_mov_b32_e32 v0, s9
	v_add_co_u32_e64 v5, s[0:1], s8, v5
	s_min_i32 s17, s3, 0x170
	s_movk_i32 s2, 0x172
	v_addc_co_u32_e64 v6, s[0:1], v0, v6, s[0:1]
	v_cmp_gt_i32_e32 vcc, s2, v1
	v_mov_b32_e32 v0, s11
	v_add_co_u32_e64 v7, s[0:1], s10, v7
	s_add_u32 s2, s10, 4
	v_addc_co_u32_e64 v8, s[0:1], v0, v8, s[0:1]
	v_add_u32_e32 v0, -1, v1
	s_addc_u32 s3, s11, 0
	v_mov_b32_e32 v13, v1
	s_branch .LBB0_3
.LBB0_2:                                ;   in Loop: Header=BB0_3 Depth=1
	s_or_b64 exec, exec, s[4:5]
	s_add_i32 s16, s16, 32
	s_add_u32 s2, s2, 0x100
	s_addc_u32 s3, s3, 0
	v_subrev_u32_e32 v0, 32, v0
	s_cmp_gt_i32 s16, s17
	v_add_u32_e32 v13, 0x2e40, v13
	s_waitcnt vmcnt(0)
	s_barrier
	s_cbranch_scc1 .LBB0_8
.LBB0_3:                                ; =>This Loop Header: Depth=1
                                        ;     Child Loop BB0_7 Depth 2
	s_cmp_eq_u32 s16, 0
	s_cselect_b64 s[0:1], -1, 0
	s_and_b64 s[4:5], vcc, s[0:1]
	s_and_saveexec_b64 s[0:1], s[4:5]
	s_cbranch_execz .LBB0_5
; %bb.4:                                ;   in Loop: Header=BB0_3 Depth=1
	global_load_dwordx2 v[9:10], v[3:4], off
	s_waitcnt vmcnt(0)
	v_mul_f32_e32 v12, s14, v10
	v_mul_f32_e32 v11, s15, v10
	v_fma_f32 v10, s15, v9, -v12
	v_fmac_f32_e32 v11, s14, v9
	global_store_dwordx2 v[3:4], v[10:11], off
	global_load_dword v9, v[5:6], off
	global_load_dwordx2 v[14:15], v[7:8], off
	s_waitcnt vmcnt(1)
	v_mul_f32_e32 v12, s13, v9
	v_mul_f32_e32 v9, s12, v9
	s_waitcnt vmcnt(0)
	v_mul_f32_e32 v16, v9, v15
	v_mul_f32_e32 v15, v12, v15
	v_fma_f32 v12, v12, v14, -v16
	v_fmac_f32_e32 v15, v9, v14
	v_add_f32_e32 v9, v10, v12
	v_add_f32_e32 v10, v11, v15
	global_store_dwordx2 v[3:4], v[9:10], off
.LBB0_5:                                ;   in Loop: Header=BB0_3 Depth=1
	s_or_b64 exec, exec, s[0:1]
	v_sub_u32_e32 v9, s16, v1
	v_cmp_gt_i32_e64 s[0:1], 0, v9
	s_and_b64 s[0:1], s[0:1], vcc
	s_and_saveexec_b64 s[4:5], s[0:1]
	s_cbranch_execz .LBB0_2
; %bb.6:                                ;   in Loop: Header=BB0_3 Depth=1
	global_load_dwordx2 v[9:10], v[3:4], off
	v_med3_i32 v11, v0, 0, 31
	v_not_b32_e32 v14, v11
	s_mov_b64 s[6:7], 0
	v_mov_b32_e32 v11, v13
	s_mov_b64 s[10:11], s[2:3]
.LBB0_7:                                ;   Parent Loop BB0_3 Depth=1
                                        ; =>  This Inner Loop Header: Depth=2
	v_ashrrev_i32_e32 v12, 31, v11
	v_lshlrev_b64 v[15:16], 3, v[11:12]
	v_mov_b32_e32 v17, s9
	v_add_co_u32_e64 v15, s[0:1], s8, v15
	v_addc_co_u32_e64 v16, s[0:1], v17, v16, s[0:1]
	global_load_dwordx2 v[17:18], v[15:16], off
	global_load_dwordx2 v[19:20], v2, s[10:11] offset:-4
	s_add_u32 s10, s10, 8
	v_add_co_u32_e64 v14, s[0:1], 1, v14
	s_addc_u32 s11, s11, 0
	v_add_u32_e32 v11, 0x172, v11
	s_or_b64 s[6:7], s[0:1], s[6:7]
	s_waitcnt vmcnt(1)
	v_mul_f32_e32 v12, s12, v18
	v_mul_f32_e32 v15, s13, v18
	v_fma_f32 v12, s13, v17, -v12
	v_fmac_f32_e32 v15, s12, v17
	s_waitcnt vmcnt(0)
	v_mul_f32_e32 v16, v15, v20
	v_mul_f32_e32 v17, v12, v20
	v_fma_f32 v12, v19, v12, -v16
	v_fmac_f32_e32 v17, v19, v15
	v_add_f32_e32 v9, v9, v12
	v_add_f32_e32 v10, v10, v17
	global_store_dwordx2 v[3:4], v[9:10], off
	s_andn2_b64 exec, exec, s[6:7]
	s_cbranch_execnz .LBB0_7
	s_branch .LBB0_2
.LBB0_8:
	s_endpgm
	.section	.rodata,"a",@progbits
	.p2align	6, 0x0
	.amdhsa_kernel _Z13chemv_kernel0P12ComplexFloatS0_S0_ffff
		.amdhsa_group_segment_fixed_size 0
		.amdhsa_private_segment_fixed_size 0
		.amdhsa_kernarg_size 40
		.amdhsa_user_sgpr_count 6
		.amdhsa_user_sgpr_private_segment_buffer 1
		.amdhsa_user_sgpr_dispatch_ptr 0
		.amdhsa_user_sgpr_queue_ptr 0
		.amdhsa_user_sgpr_kernarg_segment_ptr 1
		.amdhsa_user_sgpr_dispatch_id 0
		.amdhsa_user_sgpr_flat_scratch_init 0
		.amdhsa_user_sgpr_private_segment_size 0
		.amdhsa_uses_dynamic_stack 0
		.amdhsa_system_sgpr_private_segment_wavefront_offset 0
		.amdhsa_system_sgpr_workgroup_id_x 1
		.amdhsa_system_sgpr_workgroup_id_y 0
		.amdhsa_system_sgpr_workgroup_id_z 0
		.amdhsa_system_sgpr_workgroup_info 0
		.amdhsa_system_vgpr_workitem_id 0
		.amdhsa_next_free_vgpr 21
		.amdhsa_next_free_sgpr 18
		.amdhsa_reserve_vcc 1
		.amdhsa_reserve_flat_scratch 0
		.amdhsa_float_round_mode_32 0
		.amdhsa_float_round_mode_16_64 0
		.amdhsa_float_denorm_mode_32 3
		.amdhsa_float_denorm_mode_16_64 3
		.amdhsa_dx10_clamp 1
		.amdhsa_ieee_mode 1
		.amdhsa_fp16_overflow 0
		.amdhsa_exception_fp_ieee_invalid_op 0
		.amdhsa_exception_fp_denorm_src 0
		.amdhsa_exception_fp_ieee_div_zero 0
		.amdhsa_exception_fp_ieee_overflow 0
		.amdhsa_exception_fp_ieee_underflow 0
		.amdhsa_exception_fp_ieee_inexact 0
		.amdhsa_exception_int_div_zero 0
	.end_amdhsa_kernel
	.text
.Lfunc_end0:
	.size	_Z13chemv_kernel0P12ComplexFloatS0_S0_ffff, .Lfunc_end0-_Z13chemv_kernel0P12ComplexFloatS0_S0_ffff
                                        ; -- End function
	.set _Z13chemv_kernel0P12ComplexFloatS0_S0_ffff.num_vgpr, 21
	.set _Z13chemv_kernel0P12ComplexFloatS0_S0_ffff.num_agpr, 0
	.set _Z13chemv_kernel0P12ComplexFloatS0_S0_ffff.numbered_sgpr, 18
	.set _Z13chemv_kernel0P12ComplexFloatS0_S0_ffff.num_named_barrier, 0
	.set _Z13chemv_kernel0P12ComplexFloatS0_S0_ffff.private_seg_size, 0
	.set _Z13chemv_kernel0P12ComplexFloatS0_S0_ffff.uses_vcc, 1
	.set _Z13chemv_kernel0P12ComplexFloatS0_S0_ffff.uses_flat_scratch, 0
	.set _Z13chemv_kernel0P12ComplexFloatS0_S0_ffff.has_dyn_sized_stack, 0
	.set _Z13chemv_kernel0P12ComplexFloatS0_S0_ffff.has_recursion, 0
	.set _Z13chemv_kernel0P12ComplexFloatS0_S0_ffff.has_indirect_call, 0
	.section	.AMDGPU.csdata,"",@progbits
; Kernel info:
; codeLenInByte = 588
; TotalNumSgprs: 22
; NumVgprs: 21
; ScratchSize: 0
; MemoryBound: 0
; FloatMode: 240
; IeeeMode: 1
; LDSByteSize: 0 bytes/workgroup (compile time only)
; SGPRBlocks: 2
; VGPRBlocks: 5
; NumSGPRsForWavesPerEU: 22
; NumVGPRsForWavesPerEU: 21
; Occupancy: 10
; WaveLimiterHint : 0
; COMPUTE_PGM_RSRC2:SCRATCH_EN: 0
; COMPUTE_PGM_RSRC2:USER_SGPR: 6
; COMPUTE_PGM_RSRC2:TRAP_HANDLER: 0
; COMPUTE_PGM_RSRC2:TGID_X_EN: 1
; COMPUTE_PGM_RSRC2:TGID_Y_EN: 0
; COMPUTE_PGM_RSRC2:TGID_Z_EN: 0
; COMPUTE_PGM_RSRC2:TIDIG_COMP_CNT: 0
	.text
	.protected	_Z13chemv_kernel1P12ComplexFloatS0_S0_ff ; -- Begin function _Z13chemv_kernel1P12ComplexFloatS0_S0_ff
	.globl	_Z13chemv_kernel1P12ComplexFloatS0_S0_ff
	.p2align	8
	.type	_Z13chemv_kernel1P12ComplexFloatS0_S0_ff,@function
_Z13chemv_kernel1P12ComplexFloatS0_S0_ff: ; @_Z13chemv_kernel1P12ComplexFloatS0_S0_ff
; %bb.0:
	s_mul_i32 s0, s6, 0x16e0
	s_min_i32 s7, s0, 0xf100
	s_mul_i32 s16, s6, 0x1700
	s_addk_i32 s7, 0x1780
	s_cmp_gt_i32 s16, s7
	s_cbranch_scc1 .LBB1_6
; %bb.1:
	s_load_dwordx8 s[8:15], s[4:5], 0x0
	s_movk_i32 s1, 0xb8
	v_mov_b32_e32 v1, s16
	v_mad_u32_u24 v10, v0, s1, v1
	s_movk_i32 s1, 0xb7
	v_mov_b32_e32 v1, s0
	s_lshl_b32 s0, s6, 5
	v_mad_u32_u24 v11, v0, s1, v1
	v_add_u32_e32 v1, s0, v0
	v_ashrrev_i32_e32 v2, 31, v1
	v_mul_u32_u24_e32 v3, 0xb7, v0
	v_lshlrev_b64 v[1:2], 3, v[1:2]
	s_waitcnt lgkmcnt(0)
	s_add_u32 s4, s10, 8
	s_addc_u32 s5, s11, 0
	v_sub_u32_e32 v12, s0, v3
	s_mul_i32 s0, s6, 0x2e60
	v_mov_b32_e32 v4, s13
	v_add_co_u32_e32 v1, vcc, s12, v1
	s_add_u32 s8, s8, 8
	s_movk_i32 s1, 0xbb
	v_mov_b32_e32 v3, s0
	v_mul_u32_u24_e32 v9, 0xb8, v0
	v_addc_co_u32_e32 v2, vcc, v4, v2, vcc
	s_addc_u32 s9, s9, 0
	v_mad_u32_u24 v0, v0, s1, v3
	s_branch .LBB1_3
.LBB1_2:                                ;   in Loop: Header=BB1_3 Depth=1
	s_or_b64 exec, exec, s[0:1]
	s_add_i32 s0, s16, 32
	v_subrev_u32_e32 v9, 32, v9
	v_add_u32_e32 v12, 32, v12
	v_add_u32_e32 v0, 32, v0
	s_cmp_ge_i32 s16, s7
	s_mov_b32 s16, s0
	s_waitcnt vmcnt(0)
	s_barrier
	s_cbranch_scc1 .LBB1_6
.LBB1_3:                                ; =>This Loop Header: Depth=1
                                        ;     Child Loop BB1_5 Depth 2
	v_subrev_u32_e32 v4, s16, v11
	v_subrev_u32_e32 v3, s16, v10
	v_min_i32_e32 v4, 0xfffffeaf, v4
	v_max_i32_e32 v3, 0, v3
	v_add_u32_e32 v13, 0x170, v4
	v_cmp_le_i32_e32 vcc, v3, v13
	s_and_saveexec_b64 s[0:1], vcc
	s_cbranch_execz .LBB1_2
; %bb.4:                                ;   in Loop: Header=BB1_3 Depth=1
	global_load_dwordx2 v[3:4], v[1:2], off
	v_max_i32_e32 v7, 0, v9
	v_add_u32_e32 v5, v7, v12
	v_ashrrev_i32_e32 v6, 31, v5
	v_lshlrev_b64 v[5:6], 3, v[5:6]
	v_add_u32_e32 v14, -1, v7
	v_mov_b32_e32 v8, s5
	v_add_co_u32_e32 v5, vcc, s4, v5
	v_add_u32_e32 v7, v7, v0
	v_addc_co_u32_e32 v6, vcc, v8, v6, vcc
	v_ashrrev_i32_e32 v8, 31, v7
	v_lshlrev_b64 v[7:8], 3, v[7:8]
	v_mov_b32_e32 v15, s9
	v_add_co_u32_e32 v7, vcc, s8, v7
	v_addc_co_u32_e32 v8, vcc, v15, v8, vcc
	s_mov_b64 s[2:3], 0
.LBB1_5:                                ;   Parent Loop BB1_3 Depth=1
                                        ; =>  This Inner Loop Header: Depth=2
	global_load_dwordx2 v[15:16], v[7:8], off
	global_load_dwordx2 v[17:18], v[5:6], off
	v_add_co_u32_e32 v5, vcc, 8, v5
	v_addc_co_u32_e32 v6, vcc, 0, v6, vcc
	v_add_co_u32_e32 v7, vcc, 8, v7
	v_add_u32_e32 v14, 1, v14
	v_addc_co_u32_e32 v8, vcc, 0, v8, vcc
	v_cmp_ge_i32_e32 vcc, v14, v13
	s_or_b64 s[2:3], vcc, s[2:3]
	s_waitcnt vmcnt(1)
	v_mul_f32_e32 v19, s14, v16
	v_mul_f32_e32 v16, s15, v16
	v_fmac_f32_e32 v19, s15, v15
	v_fma_f32 v15, s14, v15, -v16
	s_waitcnt vmcnt(0)
	v_mul_f32_e32 v16, v15, v18
	v_mul_f32_e32 v18, v19, v18
	v_fma_f32 v16, v17, v19, -v16
	v_fmac_f32_e32 v18, v17, v15
	v_add_f32_e32 v3, v3, v16
	v_add_f32_e32 v4, v4, v18
	global_store_dwordx2 v[1:2], v[3:4], off
	s_andn2_b64 exec, exec, s[2:3]
	s_cbranch_execnz .LBB1_5
	s_branch .LBB1_2
.LBB1_6:
	s_endpgm
	.section	.rodata,"a",@progbits
	.p2align	6, 0x0
	.amdhsa_kernel _Z13chemv_kernel1P12ComplexFloatS0_S0_ff
		.amdhsa_group_segment_fixed_size 0
		.amdhsa_private_segment_fixed_size 0
		.amdhsa_kernarg_size 32
		.amdhsa_user_sgpr_count 6
		.amdhsa_user_sgpr_private_segment_buffer 1
		.amdhsa_user_sgpr_dispatch_ptr 0
		.amdhsa_user_sgpr_queue_ptr 0
		.amdhsa_user_sgpr_kernarg_segment_ptr 1
		.amdhsa_user_sgpr_dispatch_id 0
		.amdhsa_user_sgpr_flat_scratch_init 0
		.amdhsa_user_sgpr_private_segment_size 0
		.amdhsa_uses_dynamic_stack 0
		.amdhsa_system_sgpr_private_segment_wavefront_offset 0
		.amdhsa_system_sgpr_workgroup_id_x 1
		.amdhsa_system_sgpr_workgroup_id_y 0
		.amdhsa_system_sgpr_workgroup_id_z 0
		.amdhsa_system_sgpr_workgroup_info 0
		.amdhsa_system_vgpr_workitem_id 0
		.amdhsa_next_free_vgpr 20
		.amdhsa_next_free_sgpr 17
		.amdhsa_reserve_vcc 1
		.amdhsa_reserve_flat_scratch 0
		.amdhsa_float_round_mode_32 0
		.amdhsa_float_round_mode_16_64 0
		.amdhsa_float_denorm_mode_32 3
		.amdhsa_float_denorm_mode_16_64 3
		.amdhsa_dx10_clamp 1
		.amdhsa_ieee_mode 1
		.amdhsa_fp16_overflow 0
		.amdhsa_exception_fp_ieee_invalid_op 0
		.amdhsa_exception_fp_denorm_src 0
		.amdhsa_exception_fp_ieee_div_zero 0
		.amdhsa_exception_fp_ieee_overflow 0
		.amdhsa_exception_fp_ieee_underflow 0
		.amdhsa_exception_fp_ieee_inexact 0
		.amdhsa_exception_int_div_zero 0
	.end_amdhsa_kernel
	.text
.Lfunc_end1:
	.size	_Z13chemv_kernel1P12ComplexFloatS0_S0_ff, .Lfunc_end1-_Z13chemv_kernel1P12ComplexFloatS0_S0_ff
                                        ; -- End function
	.set _Z13chemv_kernel1P12ComplexFloatS0_S0_ff.num_vgpr, 20
	.set _Z13chemv_kernel1P12ComplexFloatS0_S0_ff.num_agpr, 0
	.set _Z13chemv_kernel1P12ComplexFloatS0_S0_ff.numbered_sgpr, 17
	.set _Z13chemv_kernel1P12ComplexFloatS0_S0_ff.num_named_barrier, 0
	.set _Z13chemv_kernel1P12ComplexFloatS0_S0_ff.private_seg_size, 0
	.set _Z13chemv_kernel1P12ComplexFloatS0_S0_ff.uses_vcc, 1
	.set _Z13chemv_kernel1P12ComplexFloatS0_S0_ff.uses_flat_scratch, 0
	.set _Z13chemv_kernel1P12ComplexFloatS0_S0_ff.has_dyn_sized_stack, 0
	.set _Z13chemv_kernel1P12ComplexFloatS0_S0_ff.has_recursion, 0
	.set _Z13chemv_kernel1P12ComplexFloatS0_S0_ff.has_indirect_call, 0
	.section	.AMDGPU.csdata,"",@progbits
; Kernel info:
; codeLenInByte = 456
; TotalNumSgprs: 21
; NumVgprs: 20
; ScratchSize: 0
; MemoryBound: 0
; FloatMode: 240
; IeeeMode: 1
; LDSByteSize: 0 bytes/workgroup (compile time only)
; SGPRBlocks: 2
; VGPRBlocks: 4
; NumSGPRsForWavesPerEU: 21
; NumVGPRsForWavesPerEU: 20
; Occupancy: 10
; WaveLimiterHint : 0
; COMPUTE_PGM_RSRC2:SCRATCH_EN: 0
; COMPUTE_PGM_RSRC2:USER_SGPR: 6
; COMPUTE_PGM_RSRC2:TRAP_HANDLER: 0
; COMPUTE_PGM_RSRC2:TGID_X_EN: 1
; COMPUTE_PGM_RSRC2:TGID_Y_EN: 0
; COMPUTE_PGM_RSRC2:TGID_Z_EN: 0
; COMPUTE_PGM_RSRC2:TIDIG_COMP_CNT: 0
	.section	.AMDGPU.gpr_maximums,"",@progbits
	.set amdgpu.max_num_vgpr, 0
	.set amdgpu.max_num_agpr, 0
	.set amdgpu.max_num_sgpr, 0
	.section	.AMDGPU.csdata,"",@progbits
	.type	__hip_cuid_a42abfb2e4435bf3,@object ; @__hip_cuid_a42abfb2e4435bf3
	.section	.bss,"aw",@nobits
	.globl	__hip_cuid_a42abfb2e4435bf3
__hip_cuid_a42abfb2e4435bf3:
	.byte	0                               ; 0x0
	.size	__hip_cuid_a42abfb2e4435bf3, 1

	.ident	"AMD clang version 22.0.0git (https://github.com/RadeonOpenCompute/llvm-project roc-7.2.4 26084 f58b06dce1f9c15707c5f808fd002e18c2accf7e)"
	.section	".note.GNU-stack","",@progbits
	.addrsig
	.addrsig_sym __hip_cuid_a42abfb2e4435bf3
	.amdgpu_metadata
---
amdhsa.kernels:
  - .args:
      - .address_space:  global
        .offset:         0
        .size:           8
        .value_kind:     global_buffer
      - .address_space:  global
        .offset:         8
        .size:           8
        .value_kind:     global_buffer
      - .address_space:  global
        .offset:         16
        .size:           8
        .value_kind:     global_buffer
      - .offset:         24
        .size:           4
        .value_kind:     by_value
      - .offset:         28
        .size:           4
        .value_kind:     by_value
      - .offset:         32
        .size:           4
        .value_kind:     by_value
      - .offset:         36
        .size:           4
        .value_kind:     by_value
    .group_segment_fixed_size: 0
    .kernarg_segment_align: 8
    .kernarg_segment_size: 40
    .language:       OpenCL C
    .language_version:
      - 2
      - 0
    .max_flat_workgroup_size: 1024
    .name:           _Z13chemv_kernel0P12ComplexFloatS0_S0_ffff
    .private_segment_fixed_size: 0
    .sgpr_count:     22
    .sgpr_spill_count: 0
    .symbol:         _Z13chemv_kernel0P12ComplexFloatS0_S0_ffff.kd
    .uniform_work_group_size: 1
    .uses_dynamic_stack: false
    .vgpr_count:     21
    .vgpr_spill_count: 0
    .wavefront_size: 64
  - .args:
      - .address_space:  global
        .offset:         0
        .size:           8
        .value_kind:     global_buffer
      - .address_space:  global
        .offset:         8
        .size:           8
        .value_kind:     global_buffer
      - .address_space:  global
        .offset:         16
        .size:           8
        .value_kind:     global_buffer
      - .offset:         24
        .size:           4
        .value_kind:     by_value
      - .offset:         28
        .size:           4
        .value_kind:     by_value
    .group_segment_fixed_size: 0
    .kernarg_segment_align: 8
    .kernarg_segment_size: 32
    .language:       OpenCL C
    .language_version:
      - 2
      - 0
    .max_flat_workgroup_size: 1024
    .name:           _Z13chemv_kernel1P12ComplexFloatS0_S0_ff
    .private_segment_fixed_size: 0
    .sgpr_count:     21
    .sgpr_spill_count: 0
    .symbol:         _Z13chemv_kernel1P12ComplexFloatS0_S0_ff.kd
    .uniform_work_group_size: 1
    .uses_dynamic_stack: false
    .vgpr_count:     20
    .vgpr_spill_count: 0
    .wavefront_size: 64
amdhsa.target:   amdgcn-amd-amdhsa--gfx906
amdhsa.version:
  - 1
  - 2
...

	.end_amdgpu_metadata
